;; amdgpu-corpus repo=ROCm/rocFFT kind=compiled arch=gfx1030 opt=O3
	.text
	.amdgcn_target "amdgcn-amd-amdhsa--gfx1030"
	.amdhsa_code_object_version 6
	.protected	fft_rtc_fwd_len1225_factors_5_5_7_7_wgs_175_tpt_175_halfLds_dp_op_CI_CI_unitstride_sbrr_dirReg ; -- Begin function fft_rtc_fwd_len1225_factors_5_5_7_7_wgs_175_tpt_175_halfLds_dp_op_CI_CI_unitstride_sbrr_dirReg
	.globl	fft_rtc_fwd_len1225_factors_5_5_7_7_wgs_175_tpt_175_halfLds_dp_op_CI_CI_unitstride_sbrr_dirReg
	.p2align	8
	.type	fft_rtc_fwd_len1225_factors_5_5_7_7_wgs_175_tpt_175_halfLds_dp_op_CI_CI_unitstride_sbrr_dirReg,@function
fft_rtc_fwd_len1225_factors_5_5_7_7_wgs_175_tpt_175_halfLds_dp_op_CI_CI_unitstride_sbrr_dirReg: ; @fft_rtc_fwd_len1225_factors_5_5_7_7_wgs_175_tpt_175_halfLds_dp_op_CI_CI_unitstride_sbrr_dirReg
; %bb.0:
	s_clause 0x2
	s_load_dwordx4 s[12:15], s[4:5], 0x0
	s_load_dwordx4 s[8:11], s[4:5], 0x58
	;; [unrolled: 1-line block ×3, first 2 shown]
	v_mul_u32_u24_e32 v1, 0x177, v0
	v_mov_b32_e32 v3, 0
	v_add_nc_u32_sdwa v5, s6, v1 dst_sel:DWORD dst_unused:UNUSED_PAD src0_sel:DWORD src1_sel:WORD_1
	v_mov_b32_e32 v1, 0
	v_mov_b32_e32 v6, v3
	v_mov_b32_e32 v2, 0
	s_waitcnt lgkmcnt(0)
	v_cmp_lt_u64_e64 s0, s[14:15], 2
	s_and_b32 vcc_lo, exec_lo, s0
	s_cbranch_vccnz .LBB0_8
; %bb.1:
	s_load_dwordx2 s[0:1], s[4:5], 0x10
	v_mov_b32_e32 v1, 0
	v_mov_b32_e32 v2, 0
	s_add_u32 s2, s18, 8
	s_addc_u32 s3, s19, 0
	s_add_u32 s6, s16, 8
	s_addc_u32 s7, s17, 0
	v_mov_b32_e32 v57, v2
	v_mov_b32_e32 v56, v1
	s_mov_b64 s[22:23], 1
	s_waitcnt lgkmcnt(0)
	s_add_u32 s20, s0, 8
	s_addc_u32 s21, s1, 0
.LBB0_2:                                ; =>This Inner Loop Header: Depth=1
	s_load_dwordx2 s[24:25], s[20:21], 0x0
                                        ; implicit-def: $vgpr58_vgpr59
	s_mov_b32 s0, exec_lo
	s_waitcnt lgkmcnt(0)
	v_or_b32_e32 v4, s25, v6
	v_cmpx_ne_u64_e32 0, v[3:4]
	s_xor_b32 s1, exec_lo, s0
	s_cbranch_execz .LBB0_4
; %bb.3:                                ;   in Loop: Header=BB0_2 Depth=1
	v_cvt_f32_u32_e32 v4, s24
	v_cvt_f32_u32_e32 v7, s25
	s_sub_u32 s0, 0, s24
	s_subb_u32 s26, 0, s25
	v_fmac_f32_e32 v4, 0x4f800000, v7
	v_rcp_f32_e32 v4, v4
	v_mul_f32_e32 v4, 0x5f7ffffc, v4
	v_mul_f32_e32 v7, 0x2f800000, v4
	v_trunc_f32_e32 v7, v7
	v_fmac_f32_e32 v4, 0xcf800000, v7
	v_cvt_u32_f32_e32 v7, v7
	v_cvt_u32_f32_e32 v4, v4
	v_mul_lo_u32 v8, s0, v7
	v_mul_hi_u32 v9, s0, v4
	v_mul_lo_u32 v10, s26, v4
	v_add_nc_u32_e32 v8, v9, v8
	v_mul_lo_u32 v9, s0, v4
	v_add_nc_u32_e32 v8, v8, v10
	v_mul_hi_u32 v10, v4, v9
	v_mul_lo_u32 v11, v4, v8
	v_mul_hi_u32 v12, v4, v8
	v_mul_hi_u32 v13, v7, v9
	v_mul_lo_u32 v9, v7, v9
	v_mul_hi_u32 v14, v7, v8
	v_mul_lo_u32 v8, v7, v8
	v_add_co_u32 v10, vcc_lo, v10, v11
	v_add_co_ci_u32_e32 v11, vcc_lo, 0, v12, vcc_lo
	v_add_co_u32 v9, vcc_lo, v10, v9
	v_add_co_ci_u32_e32 v9, vcc_lo, v11, v13, vcc_lo
	v_add_co_ci_u32_e32 v10, vcc_lo, 0, v14, vcc_lo
	v_add_co_u32 v8, vcc_lo, v9, v8
	v_add_co_ci_u32_e32 v9, vcc_lo, 0, v10, vcc_lo
	v_add_co_u32 v4, vcc_lo, v4, v8
	v_add_co_ci_u32_e32 v7, vcc_lo, v7, v9, vcc_lo
	v_mul_hi_u32 v8, s0, v4
	v_mul_lo_u32 v10, s26, v4
	v_mul_lo_u32 v9, s0, v7
	v_add_nc_u32_e32 v8, v8, v9
	v_mul_lo_u32 v9, s0, v4
	v_add_nc_u32_e32 v8, v8, v10
	v_mul_hi_u32 v10, v4, v9
	v_mul_lo_u32 v11, v4, v8
	v_mul_hi_u32 v12, v4, v8
	v_mul_hi_u32 v13, v7, v9
	v_mul_lo_u32 v9, v7, v9
	v_mul_hi_u32 v14, v7, v8
	v_mul_lo_u32 v8, v7, v8
	v_add_co_u32 v10, vcc_lo, v10, v11
	v_add_co_ci_u32_e32 v11, vcc_lo, 0, v12, vcc_lo
	v_add_co_u32 v9, vcc_lo, v10, v9
	v_add_co_ci_u32_e32 v9, vcc_lo, v11, v13, vcc_lo
	v_add_co_ci_u32_e32 v10, vcc_lo, 0, v14, vcc_lo
	v_add_co_u32 v8, vcc_lo, v9, v8
	v_add_co_ci_u32_e32 v9, vcc_lo, 0, v10, vcc_lo
	v_add_co_u32 v4, vcc_lo, v4, v8
	v_add_co_ci_u32_e32 v11, vcc_lo, v7, v9, vcc_lo
	v_mul_hi_u32 v13, v5, v4
	v_mad_u64_u32 v[9:10], null, v6, v4, 0
	v_mad_u64_u32 v[7:8], null, v5, v11, 0
	;; [unrolled: 1-line block ×3, first 2 shown]
	v_add_co_u32 v4, vcc_lo, v13, v7
	v_add_co_ci_u32_e32 v7, vcc_lo, 0, v8, vcc_lo
	v_add_co_u32 v4, vcc_lo, v4, v9
	v_add_co_ci_u32_e32 v4, vcc_lo, v7, v10, vcc_lo
	v_add_co_ci_u32_e32 v7, vcc_lo, 0, v12, vcc_lo
	v_add_co_u32 v4, vcc_lo, v4, v11
	v_add_co_ci_u32_e32 v9, vcc_lo, 0, v7, vcc_lo
	v_mul_lo_u32 v10, s25, v4
	v_mad_u64_u32 v[7:8], null, s24, v4, 0
	v_mul_lo_u32 v11, s24, v9
	v_sub_co_u32 v7, vcc_lo, v5, v7
	v_add3_u32 v8, v8, v11, v10
	v_sub_nc_u32_e32 v10, v6, v8
	v_subrev_co_ci_u32_e64 v10, s0, s25, v10, vcc_lo
	v_add_co_u32 v11, s0, v4, 2
	v_add_co_ci_u32_e64 v12, s0, 0, v9, s0
	v_sub_co_u32 v13, s0, v7, s24
	v_sub_co_ci_u32_e32 v8, vcc_lo, v6, v8, vcc_lo
	v_subrev_co_ci_u32_e64 v10, s0, 0, v10, s0
	v_cmp_le_u32_e32 vcc_lo, s24, v13
	v_cmp_eq_u32_e64 s0, s25, v8
	v_cndmask_b32_e64 v13, 0, -1, vcc_lo
	v_cmp_le_u32_e32 vcc_lo, s25, v10
	v_cndmask_b32_e64 v14, 0, -1, vcc_lo
	v_cmp_le_u32_e32 vcc_lo, s24, v7
	;; [unrolled: 2-line block ×3, first 2 shown]
	v_cndmask_b32_e64 v15, 0, -1, vcc_lo
	v_cmp_eq_u32_e32 vcc_lo, s25, v10
	v_cndmask_b32_e64 v7, v15, v7, s0
	v_cndmask_b32_e32 v10, v14, v13, vcc_lo
	v_add_co_u32 v13, vcc_lo, v4, 1
	v_add_co_ci_u32_e32 v14, vcc_lo, 0, v9, vcc_lo
	v_cmp_ne_u32_e32 vcc_lo, 0, v10
	v_cndmask_b32_e32 v8, v14, v12, vcc_lo
	v_cndmask_b32_e32 v10, v13, v11, vcc_lo
	v_cmp_ne_u32_e32 vcc_lo, 0, v7
	v_cndmask_b32_e32 v59, v9, v8, vcc_lo
	v_cndmask_b32_e32 v58, v4, v10, vcc_lo
.LBB0_4:                                ;   in Loop: Header=BB0_2 Depth=1
	s_andn2_saveexec_b32 s0, s1
	s_cbranch_execz .LBB0_6
; %bb.5:                                ;   in Loop: Header=BB0_2 Depth=1
	v_cvt_f32_u32_e32 v4, s24
	s_sub_i32 s1, 0, s24
	v_mov_b32_e32 v59, v3
	v_rcp_iflag_f32_e32 v4, v4
	v_mul_f32_e32 v4, 0x4f7ffffe, v4
	v_cvt_u32_f32_e32 v4, v4
	v_mul_lo_u32 v7, s1, v4
	v_mul_hi_u32 v7, v4, v7
	v_add_nc_u32_e32 v4, v4, v7
	v_mul_hi_u32 v4, v5, v4
	v_mul_lo_u32 v7, v4, s24
	v_add_nc_u32_e32 v8, 1, v4
	v_sub_nc_u32_e32 v7, v5, v7
	v_subrev_nc_u32_e32 v9, s24, v7
	v_cmp_le_u32_e32 vcc_lo, s24, v7
	v_cndmask_b32_e32 v7, v7, v9, vcc_lo
	v_cndmask_b32_e32 v4, v4, v8, vcc_lo
	v_cmp_le_u32_e32 vcc_lo, s24, v7
	v_add_nc_u32_e32 v8, 1, v4
	v_cndmask_b32_e32 v58, v4, v8, vcc_lo
.LBB0_6:                                ;   in Loop: Header=BB0_2 Depth=1
	s_or_b32 exec_lo, exec_lo, s0
	v_mul_lo_u32 v4, v59, s24
	v_mul_lo_u32 v9, v58, s25
	s_load_dwordx2 s[0:1], s[6:7], 0x0
	v_mad_u64_u32 v[7:8], null, v58, s24, 0
	s_load_dwordx2 s[24:25], s[2:3], 0x0
	s_add_u32 s22, s22, 1
	s_addc_u32 s23, s23, 0
	s_add_u32 s2, s2, 8
	s_addc_u32 s3, s3, 0
	s_add_u32 s6, s6, 8
	v_add3_u32 v4, v8, v9, v4
	v_sub_co_u32 v5, vcc_lo, v5, v7
	s_addc_u32 s7, s7, 0
	s_add_u32 s20, s20, 8
	v_sub_co_ci_u32_e32 v4, vcc_lo, v6, v4, vcc_lo
	s_addc_u32 s21, s21, 0
	s_waitcnt lgkmcnt(0)
	v_mul_lo_u32 v6, s0, v4
	v_mul_lo_u32 v7, s1, v5
	v_mad_u64_u32 v[1:2], null, s0, v5, v[1:2]
	v_mul_lo_u32 v4, s24, v4
	v_mul_lo_u32 v8, s25, v5
	v_mad_u64_u32 v[56:57], null, s24, v5, v[56:57]
	v_cmp_ge_u64_e64 s0, s[22:23], s[14:15]
	v_add3_u32 v2, v7, v2, v6
	v_add3_u32 v57, v8, v57, v4
	s_and_b32 vcc_lo, exec_lo, s0
	s_cbranch_vccnz .LBB0_9
; %bb.7:                                ;   in Loop: Header=BB0_2 Depth=1
	v_mov_b32_e32 v5, v58
	v_mov_b32_e32 v6, v59
	s_branch .LBB0_2
.LBB0_8:
	v_mov_b32_e32 v57, v2
	v_mov_b32_e32 v59, v6
	;; [unrolled: 1-line block ×4, first 2 shown]
.LBB0_9:
	s_load_dwordx2 s[0:1], s[4:5], 0x28
	v_mul_hi_u32 v3, 0x1767dcf, v0
	s_lshl_b64 s[4:5], s[14:15], 3
                                        ; implicit-def: $sgpr6
                                        ; implicit-def: $vgpr61
	s_add_u32 s2, s18, s4
	s_addc_u32 s3, s19, s5
	s_waitcnt lgkmcnt(0)
	v_cmp_gt_u64_e32 vcc_lo, s[0:1], v[58:59]
	v_cmp_le_u64_e64 s0, s[0:1], v[58:59]
	s_and_saveexec_b32 s1, s0
	s_xor_b32 s0, exec_lo, s1
; %bb.10:
	v_mul_u32_u24_e32 v1, 0xaf, v3
	s_mov_b32 s6, 0
                                        ; implicit-def: $vgpr3
	v_sub_nc_u32_e32 v61, v0, v1
                                        ; implicit-def: $vgpr0
                                        ; implicit-def: $vgpr1_vgpr2
; %bb.11:
	s_or_saveexec_b32 s1, s0
	s_load_dwordx2 s[2:3], s[2:3], 0x0
	v_mov_b32_e32 v60, s6
                                        ; implicit-def: $vgpr30_vgpr31
                                        ; implicit-def: $vgpr34_vgpr35
                                        ; implicit-def: $vgpr38_vgpr39
                                        ; implicit-def: $vgpr42_vgpr43
                                        ; implicit-def: $vgpr46_vgpr47
                                        ; implicit-def: $vgpr6_vgpr7
                                        ; implicit-def: $vgpr10_vgpr11
                                        ; implicit-def: $vgpr14_vgpr15
                                        ; implicit-def: $vgpr18_vgpr19
                                        ; implicit-def: $vgpr22_vgpr23
	s_xor_b32 exec_lo, exec_lo, s1
	s_cbranch_execz .LBB0_15
; %bb.12:
	s_add_u32 s4, s16, s4
	s_addc_u32 s5, s17, s5
	v_lshlrev_b64 v[1:2], 4, v[1:2]
	s_load_dwordx2 s[4:5], s[4:5], 0x0
                                        ; implicit-def: $vgpr44_vgpr45
                                        ; implicit-def: $vgpr40_vgpr41
                                        ; implicit-def: $vgpr36_vgpr37
                                        ; implicit-def: $vgpr32_vgpr33
                                        ; implicit-def: $vgpr28_vgpr29
	s_waitcnt lgkmcnt(0)
	v_mul_lo_u32 v6, s5, v58
	v_mul_lo_u32 v7, s4, v59
	v_mad_u64_u32 v[4:5], null, s4, v58, 0
	s_mov_b32 s4, exec_lo
	v_add3_u32 v5, v5, v7, v6
	v_mul_u32_u24_e32 v6, 0xaf, v3
	v_lshlrev_b64 v[3:4], 4, v[4:5]
	v_sub_nc_u32_e32 v61, v0, v6
	v_add_co_u32 v0, s0, s8, v3
	v_add_co_ci_u32_e64 v3, s0, s9, v4, s0
	v_lshlrev_b32_e32 v4, 4, v61
	v_add_co_u32 v0, s0, v0, v1
	v_add_co_ci_u32_e64 v1, s0, v3, v2, s0
	v_add_co_u32 v0, s0, v0, v4
	v_add_co_ci_u32_e64 v1, s0, 0, v1, s0
	;; [unrolled: 2-line block ×6, first 2 shown]
	s_clause 0x4
	global_load_dwordx4 v[20:23], v[0:1], off
	global_load_dwordx4 v[16:19], v[2:3], off offset:1872
	global_load_dwordx4 v[12:15], v[24:25], off offset:1696
	;; [unrolled: 1-line block ×4, first 2 shown]
	v_cmpx_gt_u32_e32 0x46, v61
; %bb.13:
	v_add_co_u32 v0, s0, 0x4800, v0
	v_add_co_ci_u32_e64 v1, s0, 0, v1, s0
	s_clause 0x4
	global_load_dwordx4 v[44:47], v[2:3], off offset:752
	global_load_dwordx4 v[40:43], v[24:25], off offset:576
	;; [unrolled: 1-line block ×5, first 2 shown]
; %bb.14:
	s_or_b32 exec_lo, exec_lo, s4
	v_mov_b32_e32 v60, v61
.LBB0_15:
	s_or_b32 exec_lo, exec_lo, s1
	s_waitcnt vmcnt(0)
	v_add_f64 v[0:1], v[28:29], v[40:41]
	v_add_f64 v[2:3], v[8:9], v[12:13]
	;; [unrolled: 1-line block ×4, first 2 shown]
	v_add_f64 v[48:49], v[38:39], -v[34:35]
	v_add_f64 v[50:51], v[16:17], v[20:21]
	v_add_f64 v[52:53], v[40:41], v[44:45]
	v_add_f64 v[54:55], v[18:19], -v[6:7]
	v_add_f64 v[62:63], v[14:15], -v[10:11]
	s_mov_b32 s0, 0x134454ff
	s_mov_b32 s1, 0x3fee6f0e
	;; [unrolled: 1-line block ×4, first 2 shown]
	v_add_f64 v[64:65], v[32:33], -v[28:29]
	v_add_f64 v[66:67], v[16:17], -v[12:13]
	;; [unrolled: 1-line block ×7, first 2 shown]
	v_fma_f64 v[0:1], v[0:1], -0.5, v[44:45]
	v_fma_f64 v[2:3], v[2:3], -0.5, v[20:21]
	;; [unrolled: 1-line block ×3, first 2 shown]
	v_add_f64 v[24:25], v[42:43], -v[30:31]
	v_fma_f64 v[26:27], v[26:27], -0.5, v[44:45]
	v_add_f64 v[44:45], v[36:37], -v[40:41]
	v_add_f64 v[50:51], v[12:13], v[50:51]
	v_add_f64 v[52:53], v[36:37], v[52:53]
	v_fma_f64 v[78:79], v[48:49], s[4:5], v[0:1]
	v_fma_f64 v[0:1], v[48:49], s[0:1], v[0:1]
	;; [unrolled: 1-line block ×8, first 2 shown]
	s_mov_b32 s0, 0x4755a5e
	s_mov_b32 s1, 0x3fe2cf23
	;; [unrolled: 1-line block ×4, first 2 shown]
	v_add_f64 v[44:45], v[64:65], v[44:45]
	v_add_f64 v[64:65], v[68:69], v[66:67]
	;; [unrolled: 1-line block ×6, first 2 shown]
	v_fma_f64 v[70:71], v[24:25], s[0:1], v[78:79]
	v_fma_f64 v[72:73], v[24:25], s[4:5], v[0:1]
	;; [unrolled: 1-line block ×8, first 2 shown]
	s_mov_b32 s0, 0x372fe950
	s_mov_b32 s1, 0x3fd3c6ef
	v_add_f64 v[50:51], v[4:5], v[50:51]
	v_add_f64 v[0:1], v[28:29], v[52:53]
	v_fma_f64 v[24:25], v[44:45], s[0:1], v[70:71]
	v_fma_f64 v[26:27], v[44:45], s[0:1], v[72:73]
	;; [unrolled: 1-line block ×8, first 2 shown]
	v_mad_u32_u24 v63, v61, 40, 0
	v_cmp_gt_u32_e64 s0, 0x46, v61
	ds_write2_b64 v63, v[50:51], v[44:45] offset1:1
	ds_write2_b64 v63, v[70:71], v[66:67] offset0:2 offset1:3
	ds_write_b64 v63, v[52:53] offset:32
	v_add_nc_u32_e32 v65, 0x1b58, v63
	v_add_nc_u32_e32 v64, 0x1b68, v63
	s_and_saveexec_b32 s1, s0
	s_cbranch_execz .LBB0_17
; %bb.16:
	ds_write2_b64 v65, v[0:1], v[2:3] offset1:1
	ds_write2_b64 v64, v[24:25], v[26:27] offset1:1
	ds_write_b64 v63, v[20:21] offset:7032
.LBB0_17:
	s_or_b32 exec_lo, exec_lo, s1
	v_lshlrev_b32_e32 v62, 5, v61
	s_waitcnt lgkmcnt(0)
	s_barrier
	buffer_gl0_inv
	v_sub_nc_u32_e32 v44, v63, v62
	v_sub_nc_u32_e32 v62, 0, v62
	v_add_nc_u32_e32 v45, 0xf00, v44
	v_add_nc_u32_e32 v62, v63, v62
	ds_read2_b64 v[48:51], v44 offset1:245
	ds_read2_b64 v[52:55], v45 offset0:10 offset1:255
	ds_read_b64 v[44:45], v44 offset:7840
	s_and_saveexec_b32 s1, s0
	s_cbranch_execz .LBB0_19
; %bb.18:
	v_add_nc_u32_e32 v0, 0x540, v62
	v_add_nc_u32_e32 v20, 0x1480, v62
	ds_read2_b64 v[0:3], v0 offset0:7 offset1:252
	ds_read2_b64 v[24:27], v20 offset0:9 offset1:254
	ds_read_b64 v[20:21], v62 offset:9240
.LBB0_19:
	s_or_b32 exec_lo, exec_lo, s1
	v_add_f64 v[66:67], v[10:11], v[14:15]
	v_add_f64 v[68:69], v[6:7], v[18:19]
	;; [unrolled: 1-line block ×5, first 2 shown]
	v_add_f64 v[4:5], v[16:17], -v[4:5]
	v_add_f64 v[16:17], v[42:43], v[46:47]
	v_add_f64 v[8:9], v[12:13], -v[8:9]
	v_add_f64 v[32:33], v[36:37], -v[32:33]
	s_mov_b32 s4, 0x134454ff
	s_mov_b32 s5, 0xbfee6f0e
	;; [unrolled: 1-line block ×4, first 2 shown]
	v_add_f64 v[76:77], v[34:35], -v[30:31]
	s_waitcnt lgkmcnt(0)
	s_barrier
	buffer_gl0_inv
	v_fma_f64 v[66:67], v[66:67], -0.5, v[22:23]
	v_fma_f64 v[12:13], v[68:69], -0.5, v[22:23]
	v_add_f64 v[22:23], v[40:41], -v[28:29]
	v_fma_f64 v[28:29], v[70:71], -0.5, v[46:47]
	v_fma_f64 v[36:37], v[72:73], -0.5, v[46:47]
	v_add_f64 v[40:41], v[18:19], -v[14:15]
	v_add_f64 v[46:47], v[6:7], -v[10:11]
	v_add_f64 v[18:19], v[14:15], -v[18:19]
	v_add_f64 v[68:69], v[10:11], -v[6:7]
	v_add_f64 v[70:71], v[42:43], -v[38:39]
	v_add_f64 v[72:73], v[30:31], -v[34:35]
	v_add_f64 v[42:43], v[38:39], -v[42:43]
	v_add_f64 v[14:15], v[14:15], v[74:75]
	v_add_f64 v[16:17], v[38:39], v[16:17]
	v_fma_f64 v[38:39], v[4:5], s[4:5], v[66:67]
	v_fma_f64 v[74:75], v[8:9], s[6:7], v[12:13]
	;; [unrolled: 1-line block ×8, first 2 shown]
	s_mov_b32 s4, 0x4755a5e
	s_mov_b32 s5, 0xbfe2cf23
	;; [unrolled: 1-line block ×4, first 2 shown]
	v_add_f64 v[40:41], v[46:47], v[40:41]
	v_add_f64 v[18:19], v[68:69], v[18:19]
	;; [unrolled: 1-line block ×6, first 2 shown]
	v_fma_f64 v[16:17], v[8:9], s[4:5], v[38:39]
	v_fma_f64 v[34:35], v[4:5], s[4:5], v[74:75]
	;; [unrolled: 1-line block ×8, first 2 shown]
	s_mov_b32 s4, 0x372fe950
	s_mov_b32 s5, 0x3fd3c6ef
	v_add_f64 v[10:11], v[6:7], v[10:11]
	v_add_f64 v[4:5], v[30:31], v[14:15]
	v_fma_f64 v[16:17], v[40:41], s[4:5], v[16:17]
	v_fma_f64 v[30:31], v[18:19], s[4:5], v[34:35]
	;; [unrolled: 1-line block ×8, first 2 shown]
	ds_write2_b64 v63, v[10:11], v[16:17] offset1:1
	ds_write2_b64 v63, v[30:31], v[18:19] offset0:2 offset1:3
	ds_write_b64 v63, v[8:9] offset:32
	s_and_saveexec_b32 s1, s0
	s_cbranch_execz .LBB0_21
; %bb.20:
	ds_write2_b64 v65, v[4:5], v[6:7] offset1:1
	ds_write2_b64 v64, v[12:13], v[14:15] offset1:1
	ds_write_b64 v63, v[22:23] offset:7032
.LBB0_21:
	s_or_b32 exec_lo, exec_lo, s1
	v_add_nc_u32_e32 v16, 0xf00, v62
	s_waitcnt lgkmcnt(0)
	s_barrier
	buffer_gl0_inv
	ds_read2_b64 v[8:11], v62 offset1:245
	ds_read2_b64 v[16:19], v16 offset0:10 offset1:255
	ds_read_b64 v[38:39], v62 offset:7840
	s_and_saveexec_b32 s1, s0
	s_cbranch_execz .LBB0_23
; %bb.22:
	v_add_nc_u32_e32 v4, 0x540, v62
	v_add_nc_u32_e32 v12, 0x1480, v62
	ds_read2_b64 v[4:7], v4 offset0:7 offset1:252
	ds_read2_b64 v[12:15], v12 offset0:9 offset1:254
	ds_read_b64 v[22:23], v62 offset:9240
.LBB0_23:
	s_or_b32 exec_lo, exec_lo, s1
	v_and_b32_e32 v46, 0xff, v61
	v_mov_b32_e32 v32, 6
	v_add_nc_u32_e32 v95, 0xaf, v61
	s_mov_b32 s6, 0x134454ff
	s_mov_b32 s7, 0x3fee6f0e
	v_mul_lo_u16 v28, 0xcd, v46
	s_mov_b32 s5, 0xbfee6f0e
	s_mov_b32 s4, s6
	;; [unrolled: 1-line block ×4, first 2 shown]
	v_lshrrev_b16 v93, 10, v28
	s_mov_b32 s17, 0xbfe2cf23
	s_mov_b32 s16, s8
	;; [unrolled: 1-line block ×4, first 2 shown]
	v_mul_lo_u16 v28, v93, 5
	v_sub_nc_u16 v94, v61, v28
	v_lshlrev_b32_sdwa v33, v32, v94 dst_sel:DWORD dst_unused:UNUSED_PAD src0_sel:DWORD src1_sel:BYTE_0
	s_clause 0x3
	global_load_dwordx4 v[40:43], v33, s[12:13]
	global_load_dwordx4 v[63:66], v33, s[12:13] offset:48
	global_load_dwordx4 v[28:31], v33, s[12:13] offset:16
	;; [unrolled: 1-line block ×3, first 2 shown]
	v_mov_b32_e32 v33, 0xcccd
	v_mul_u32_u24_sdwa v33, v95, v33 dst_sel:DWORD dst_unused:UNUSED_PAD src0_sel:WORD_0 src1_sel:DWORD
	v_lshrrev_b32_e32 v33, 18, v33
	v_mul_lo_u16 v33, v33, 5
	v_sub_nc_u16 v47, v95, v33
	v_lshlrev_b32_sdwa v32, v32, v47 dst_sel:DWORD dst_unused:UNUSED_PAD src0_sel:DWORD src1_sel:WORD_0
	s_clause 0x3
	global_load_dwordx4 v[71:74], v32, s[12:13]
	global_load_dwordx4 v[75:78], v32, s[12:13] offset:16
	global_load_dwordx4 v[79:82], v32, s[12:13] offset:32
	global_load_dwordx4 v[83:86], v32, s[12:13] offset:48
	s_waitcnt vmcnt(0) lgkmcnt(0)
	s_barrier
	buffer_gl0_inv
	v_mul_f64 v[32:33], v[10:11], v[42:43]
	v_mul_f64 v[34:35], v[38:39], v[65:66]
	v_mul_f64 v[36:37], v[16:17], v[30:31]
	v_mul_f64 v[87:88], v[18:19], v[69:70]
	v_mul_f64 v[89:90], v[52:53], v[30:31]
	v_mul_f64 v[42:43], v[50:51], v[42:43]
	v_mul_f64 v[69:70], v[54:55], v[69:70]
	v_fma_f64 v[30:31], v[50:51], v[40:41], -v[32:33]
	v_fma_f64 v[32:33], v[44:45], v[63:64], -v[34:35]
	v_mul_f64 v[50:51], v[44:45], v[65:66]
	v_fma_f64 v[34:35], v[52:53], v[28:29], -v[36:37]
	v_fma_f64 v[36:37], v[54:55], v[67:68], -v[87:88]
	v_fma_f64 v[44:45], v[10:11], v[40:41], v[42:43]
	v_fma_f64 v[28:29], v[16:17], v[28:29], v[89:90]
	;; [unrolled: 1-line block ×3, first 2 shown]
	v_mul_f64 v[69:70], v[6:7], v[73:74]
	v_mul_f64 v[73:74], v[2:3], v[73:74]
	;; [unrolled: 1-line block ×4, first 2 shown]
	v_add_f64 v[42:43], v[48:49], v[30:31]
	v_add_f64 v[18:19], v[30:31], v[32:33]
	v_fma_f64 v[10:11], v[38:39], v[63:64], v[50:51]
	v_add_f64 v[54:55], v[34:35], -v[30:31]
	v_add_f64 v[38:39], v[34:35], v[36:37]
	v_add_f64 v[52:53], v[32:33], -v[36:37]
	v_add_f64 v[63:64], v[36:37], -v[32:33]
	;; [unrolled: 1-line block ×3, first 2 shown]
	v_fma_f64 v[24:25], v[24:25], v[75:76], -v[87:88]
	v_add_f64 v[42:43], v[42:43], v[34:35]
	v_fma_f64 v[18:19], v[18:19], -0.5, v[48:49]
	v_add_f64 v[50:51], v[44:45], -v[10:11]
	v_fma_f64 v[38:39], v[38:39], -0.5, v[48:49]
	v_add_f64 v[48:49], v[30:31], -v[34:35]
	v_add_f64 v[54:55], v[54:55], v[63:64]
	v_mul_f64 v[63:64], v[26:27], v[81:82]
	v_add_f64 v[89:90], v[42:43], v[36:37]
	v_fma_f64 v[65:66], v[40:41], s[4:5], v[18:19]
	v_fma_f64 v[18:19], v[40:41], s[6:7], v[18:19]
	;; [unrolled: 1-line block ×4, first 2 shown]
	v_add_f64 v[48:49], v[48:49], v[52:53]
	v_mul_f64 v[52:53], v[14:15], v[81:82]
	v_mul_f64 v[81:82], v[22:23], v[85:86]
	;; [unrolled: 1-line block ×3, first 2 shown]
	v_fma_f64 v[65:66], v[50:51], s[8:9], v[65:66]
	v_fma_f64 v[50:51], v[50:51], s[16:17], v[18:19]
	;; [unrolled: 1-line block ×5, first 2 shown]
	v_fma_f64 v[40:41], v[2:3], v[71:72], -v[69:70]
	v_fma_f64 v[38:39], v[6:7], v[71:72], v[73:74]
	v_fma_f64 v[26:27], v[26:27], v[79:80], -v[52:53]
	v_fma_f64 v[12:13], v[14:15], v[79:80], v[63:64]
	v_fma_f64 v[42:43], v[20:21], v[83:84], -v[81:82]
	v_add_f64 v[6:7], v[89:90], v[32:33]
	v_fma_f64 v[14:15], v[22:23], v[83:84], v[85:86]
	v_mov_b32_e32 v2, 0xc8
	v_mov_b32_e32 v3, 3
	v_mul_u32_u24_sdwa v22, v93, v2 dst_sel:DWORD dst_unused:UNUSED_PAD src0_sel:WORD_0 src1_sel:DWORD
	v_lshlrev_b32_sdwa v23, v3, v94 dst_sel:DWORD dst_unused:UNUSED_PAD src0_sel:DWORD src1_sel:BYTE_0
	v_fma_f64 v[52:53], v[54:55], s[14:15], v[65:66]
	v_fma_f64 v[50:51], v[54:55], s[14:15], v[50:51]
	;; [unrolled: 1-line block ×4, first 2 shown]
	v_add3_u32 v49, 0, v22, v23
	v_and_b32_e32 v48, 0xff, v95
	ds_write2_b64 v49, v[6:7], v[20:21] offset1:5
	ds_write2_b64 v49, v[52:53], v[50:51] offset0:10 offset1:15
	ds_write_b64 v49, v[54:55] offset:160
	s_and_saveexec_b32 s1, s0
	s_cbranch_execz .LBB0_25
; %bb.24:
	v_add_f64 v[6:7], v[40:41], v[42:43]
	v_add_f64 v[20:21], v[24:25], v[26:27]
	v_add_f64 v[22:23], v[18:19], -v[12:13]
	v_add_f64 v[50:51], v[0:1], v[40:41]
	v_add_f64 v[52:53], v[38:39], -v[14:15]
	v_add_f64 v[54:55], v[26:27], -v[42:43]
	;; [unrolled: 1-line block ×4, first 2 shown]
	v_lshlrev_b32_sdwa v3, v3, v47 dst_sel:DWORD dst_unused:UNUSED_PAD src0_sel:DWORD src1_sel:WORD_0
	v_fma_f64 v[6:7], v[6:7], -0.5, v[0:1]
	v_fma_f64 v[0:1], v[20:21], -0.5, v[0:1]
	v_add_f64 v[20:21], v[24:25], -v[40:41]
	v_add_f64 v[50:51], v[50:51], v[24:25]
	v_fma_f64 v[67:68], v[22:23], s[6:7], v[6:7]
	v_fma_f64 v[6:7], v[22:23], s[4:5], v[6:7]
	;; [unrolled: 1-line block ×4, first 2 shown]
	v_add_f64 v[20:21], v[20:21], v[54:55]
	v_add_f64 v[54:55], v[63:64], v[65:66]
	;; [unrolled: 1-line block ×3, first 2 shown]
	v_fma_f64 v[63:64], v[52:53], s[16:17], v[67:68]
	v_fma_f64 v[6:7], v[52:53], s[8:9], v[6:7]
	;; [unrolled: 1-line block ×4, first 2 shown]
	v_add_f64 v[22:23], v[50:51], v[42:43]
	v_fma_f64 v[50:51], v[20:21], s[14:15], v[63:64]
	v_fma_f64 v[6:7], v[20:21], s[14:15], v[6:7]
	;; [unrolled: 1-line block ×4, first 2 shown]
	v_mul_lo_u16 v52, 0xcd, v48
	v_lshrrev_b16 v52, 10, v52
	v_mul_u32_u24_sdwa v2, v52, v2 dst_sel:DWORD dst_unused:UNUSED_PAD src0_sel:WORD_0 src1_sel:DWORD
	v_add3_u32 v2, 0, v2, v3
	ds_write2_b64 v2, v[22:23], v[20:21] offset1:5
	ds_write2_b64 v2, v[6:7], v[50:51] offset0:10 offset1:15
	ds_write_b64 v2, v[0:1] offset:160
.LBB0_25:
	s_or_b32 exec_lo, exec_lo, s1
	v_add_f64 v[0:1], v[28:29], v[16:17]
	v_add_f64 v[2:3], v[44:45], v[10:11]
	;; [unrolled: 1-line block ×3, first 2 shown]
	v_add_f64 v[20:21], v[30:31], -v[32:33]
	v_add_f64 v[22:23], v[34:35], -v[36:37]
	;; [unrolled: 1-line block ×5, first 2 shown]
	s_waitcnt lgkmcnt(0)
	s_barrier
	buffer_gl0_inv
	v_fma_f64 v[0:1], v[0:1], -0.5, v[8:9]
	v_fma_f64 v[2:3], v[2:3], -0.5, v[8:9]
	v_add_f64 v[8:9], v[44:45], -v[28:29]
	v_add_f64 v[6:7], v[6:7], v[28:29]
	v_fma_f64 v[28:29], v[20:21], s[4:5], v[0:1]
	v_fma_f64 v[0:1], v[20:21], s[6:7], v[0:1]
	;; [unrolled: 1-line block ×4, first 2 shown]
	v_add_f64 v[8:9], v[8:9], v[30:31]
	v_add_f64 v[30:31], v[32:33], v[34:35]
	;; [unrolled: 1-line block ×3, first 2 shown]
	ds_read_b64 v[16:17], v62 offset:8400
	v_fma_f64 v[32:33], v[22:23], s[16:17], v[28:29]
	v_fma_f64 v[0:1], v[22:23], s[8:9], v[0:1]
	v_fma_f64 v[34:35], v[20:21], s[16:17], v[36:37]
	v_fma_f64 v[2:3], v[20:21], s[8:9], v[2:3]
	v_lshl_add_u32 v22, v61, 3, 0
	v_add_nc_u32_e32 v23, 0xa00, v62
	v_add_nc_u32_e32 v28, 0x1400, v62
	v_add_f64 v[36:37], v[6:7], v[10:11]
	v_fma_f64 v[32:33], v[8:9], s[14:15], v[32:33]
	v_fma_f64 v[44:45], v[8:9], s[14:15], v[0:1]
	;; [unrolled: 1-line block ×4, first 2 shown]
	ds_read_b64 v[10:11], v62
	ds_read_b64 v[20:21], v22 offset:1400
	ds_read2_b64 v[6:9], v23 offset0:30 offset1:205
	ds_read2_b64 v[0:3], v28 offset0:60 offset1:235
	s_waitcnt lgkmcnt(0)
	s_barrier
	buffer_gl0_inv
	ds_write2_b64 v49, v[36:37], v[32:33] offset1:5
	ds_write2_b64 v49, v[34:35], v[29:30] offset0:10 offset1:15
	ds_write_b64 v49, v[44:45] offset:160
	s_and_saveexec_b32 s1, s0
	s_cbranch_execz .LBB0_27
; %bb.26:
	v_add_f64 v[29:30], v[18:19], v[12:13]
	v_add_f64 v[31:32], v[38:39], v[14:15]
	v_add_f64 v[33:34], v[4:5], v[38:39]
	v_add_f64 v[35:36], v[40:41], -v[42:43]
	v_add_f64 v[24:25], v[24:25], -v[26:27]
	s_mov_b32 s4, 0x134454ff
	s_mov_b32 s5, 0xbfee6f0e
	;; [unrolled: 1-line block ×4, first 2 shown]
	v_add_f64 v[26:27], v[38:39], -v[18:19]
	v_add_f64 v[37:38], v[18:19], -v[38:39]
	;; [unrolled: 1-line block ×3, first 2 shown]
	v_fma_f64 v[29:30], v[29:30], -0.5, v[4:5]
	v_fma_f64 v[4:5], v[31:32], -0.5, v[4:5]
	v_add_f64 v[31:32], v[14:15], -v[12:13]
	v_add_f64 v[18:19], v[33:34], v[18:19]
	v_fma_f64 v[33:34], v[35:36], s[4:5], v[29:30]
	v_fma_f64 v[29:30], v[35:36], s[6:7], v[29:30]
	v_fma_f64 v[41:42], v[24:25], s[6:7], v[4:5]
	v_fma_f64 v[4:5], v[24:25], s[4:5], v[4:5]
	s_mov_b32 s4, 0x4755a5e
	s_mov_b32 s5, 0xbfe2cf23
	;; [unrolled: 1-line block ×4, first 2 shown]
	v_add_f64 v[26:27], v[26:27], v[31:32]
	v_add_f64 v[12:13], v[18:19], v[12:13]
	;; [unrolled: 1-line block ×3, first 2 shown]
	v_fma_f64 v[18:19], v[24:25], s[4:5], v[33:34]
	v_fma_f64 v[24:25], v[24:25], s[6:7], v[29:30]
	;; [unrolled: 1-line block ×4, first 2 shown]
	s_mov_b32 s4, 0x372fe950
	s_mov_b32 s5, 0x3fd3c6ef
	v_add_f64 v[12:13], v[12:13], v[14:15]
	v_fma_f64 v[14:15], v[26:27], s[4:5], v[18:19]
	v_fma_f64 v[18:19], v[26:27], s[4:5], v[24:25]
	;; [unrolled: 1-line block ×4, first 2 shown]
	v_mul_lo_u16 v26, 0xcd, v48
	v_mov_b32_e32 v27, 0xc8
	v_mov_b32_e32 v29, 3
	v_lshrrev_b16 v26, 10, v26
	v_lshlrev_b32_sdwa v29, v29, v47 dst_sel:DWORD dst_unused:UNUSED_PAD src0_sel:DWORD src1_sel:WORD_0
	v_mul_u32_u24_sdwa v26, v26, v27 dst_sel:DWORD dst_unused:UNUSED_PAD src0_sel:WORD_0 src1_sel:DWORD
	v_add3_u32 v26, 0, v26, v29
	ds_write2_b64 v26, v[12:13], v[14:15] offset1:5
	ds_write2_b64 v26, v[24:25], v[4:5] offset0:10 offset1:15
	ds_write_b64 v26, v[18:19] offset:160
.LBB0_27:
	s_or_b32 exec_lo, exec_lo, s1
	v_mul_lo_u16 v4, v46, 41
	v_mov_b32_e32 v5, 6
	s_waitcnt lgkmcnt(0)
	s_barrier
	buffer_gl0_inv
	v_lshrrev_b16 v55, 10, v4
	s_mov_b32 s14, 0x37e14327
	s_mov_b32 s22, 0xe976ee23
	;; [unrolled: 1-line block ×4, first 2 shown]
	v_mul_lo_u16 v4, v55, 25
	s_mov_b32 s23, 0xbfe11646
	s_mov_b32 s0, 0x429ad128
	;; [unrolled: 1-line block ×4, first 2 shown]
	v_sub_nc_u16 v73, v61, v4
	s_mov_b32 s16, 0xaaaaaaaa
	s_mov_b32 s24, 0xb247c609
	;; [unrolled: 1-line block ×4, first 2 shown]
	v_mul_u32_u24_sdwa v4, v73, v5 dst_sel:DWORD dst_unused:UNUSED_PAD src0_sel:BYTE_0 src1_sel:DWORD
	s_mov_b32 s25, 0x3fd5d0dc
	s_mov_b32 s5, 0x3fe77f67
	;; [unrolled: 1-line block ×4, first 2 shown]
	v_lshlrev_b32_e32 v4, 4, v4
	s_mov_b32 s8, s4
	s_mov_b32 s18, s24
	;; [unrolled: 1-line block ×4, first 2 shown]
	s_clause 0x5
	global_load_dwordx4 v[12:15], v4, s[12:13] offset:320
	global_load_dwordx4 v[24:27], v4, s[12:13] offset:336
	;; [unrolled: 1-line block ×6, first 2 shown]
	ds_read_b64 v[4:5], v22 offset:1400
	ds_read2_b64 v[45:48], v23 offset0:30 offset1:205
	ds_read_b64 v[18:19], v62 offset:8400
	ds_read2_b64 v[49:52], v28 offset0:60 offset1:235
	s_waitcnt vmcnt(5) lgkmcnt(3)
	v_mul_f64 v[53:54], v[4:5], v[14:15]
	s_waitcnt vmcnt(4) lgkmcnt(2)
	v_mul_f64 v[63:64], v[45:46], v[26:27]
	s_waitcnt vmcnt(3) lgkmcnt(1)
	v_mul_f64 v[65:66], v[18:19], v[31:32]
	s_waitcnt vmcnt(2) lgkmcnt(0)
	v_mul_f64 v[67:68], v[51:52], v[35:36]
	v_mul_f64 v[14:15], v[20:21], v[14:15]
	v_mul_f64 v[26:27], v[6:7], v[26:27]
	s_waitcnt vmcnt(1)
	v_mul_f64 v[69:70], v[47:48], v[39:40]
	v_mul_f64 v[31:32], v[16:17], v[31:32]
	;; [unrolled: 1-line block ×4, first 2 shown]
	s_waitcnt vmcnt(0)
	v_mul_f64 v[71:72], v[49:50], v[43:44]
	v_mul_f64 v[43:44], v[0:1], v[43:44]
	v_fma_f64 v[20:21], v[20:21], v[12:13], -v[53:54]
	v_fma_f64 v[6:7], v[6:7], v[24:25], -v[63:64]
	;; [unrolled: 1-line block ×4, first 2 shown]
	v_fma_f64 v[4:5], v[4:5], v[12:13], v[14:15]
	v_fma_f64 v[12:13], v[45:46], v[24:25], v[26:27]
	v_fma_f64 v[8:9], v[8:9], v[37:38], -v[69:70]
	v_fma_f64 v[14:15], v[18:19], v[29:30], v[31:32]
	v_fma_f64 v[18:19], v[51:52], v[33:34], v[35:36]
	;; [unrolled: 1-line block ×3, first 2 shown]
	v_fma_f64 v[0:1], v[0:1], v[41:42], -v[71:72]
	v_fma_f64 v[26:27], v[49:50], v[41:42], v[43:44]
	v_add_f64 v[29:30], v[20:21], v[16:17]
	v_add_f64 v[31:32], v[6:7], v[2:3]
	v_add_f64 v[2:3], v[6:7], -v[2:3]
	ds_read_b64 v[6:7], v62
	s_waitcnt lgkmcnt(0)
	v_add_f64 v[33:34], v[4:5], v[14:15]
	v_add_f64 v[35:36], v[12:13], v[18:19]
	v_add_f64 v[12:13], v[12:13], -v[18:19]
	v_add_f64 v[18:19], v[8:9], v[0:1]
	v_add_f64 v[37:38], v[26:27], -v[24:25]
	v_add_f64 v[4:5], v[4:5], -v[14:15]
	v_add_f64 v[24:25], v[24:25], v[26:27]
	v_add_f64 v[0:1], v[0:1], -v[8:9]
	v_add_f64 v[8:9], v[20:21], -v[16:17]
	s_barrier
	buffer_gl0_inv
	v_add_f64 v[14:15], v[31:32], v[29:30]
	v_add_f64 v[16:17], v[35:36], v[33:34]
	v_add_f64 v[20:21], v[29:30], -v[18:19]
	v_add_f64 v[26:27], v[37:38], -v[12:13]
	;; [unrolled: 1-line block ×5, first 2 shown]
	v_add_f64 v[12:13], v[37:38], v[12:13]
	v_add_f64 v[45:46], v[0:1], -v[2:3]
	v_add_f64 v[37:38], v[4:5], -v[37:38]
	;; [unrolled: 1-line block ×5, first 2 shown]
	v_add_f64 v[2:3], v[0:1], v[2:3]
	v_add_f64 v[0:1], v[8:9], -v[0:1]
	v_add_f64 v[14:15], v[18:19], v[14:15]
	v_add_f64 v[18:19], v[18:19], -v[31:32]
	v_add_f64 v[16:17], v[24:25], v[16:17]
	v_mul_f64 v[20:21], v[20:21], s[14:15]
	v_mul_f64 v[24:25], v[26:27], s[22:23]
	v_mul_f64 v[26:27], v[39:40], s[0:1]
	v_mul_f64 v[35:36], v[41:42], s[14:15]
	v_mul_f64 v[41:42], v[43:44], s[6:7]
	v_add_f64 v[4:5], v[12:13], v[4:5]
	v_mul_f64 v[12:13], v[45:46], s[22:23]
	v_mul_f64 v[45:46], v[47:48], s[0:1]
	v_add_f64 v[2:3], v[2:3], v[8:9]
	v_add_f64 v[10:11], v[10:11], v[14:15]
	v_mul_f64 v[31:32], v[18:19], s[6:7]
	v_add_f64 v[49:50], v[6:7], v[16:17]
	v_fma_f64 v[6:7], v[18:19], s[6:7], v[20:21]
	v_fma_f64 v[18:19], v[37:38], s[24:25], v[24:25]
	v_fma_f64 v[24:25], v[39:40], s[0:1], -v[24:25]
	v_fma_f64 v[26:27], v[37:38], s[18:19], -v[26:27]
	v_fma_f64 v[20:21], v[29:30], s[8:9], -v[20:21]
	v_fma_f64 v[8:9], v[43:44], s[6:7], v[35:36]
	v_mov_b32_e32 v37, 0x578
	v_fma_f64 v[14:15], v[14:15], s[16:17], v[10:11]
	v_fma_f64 v[29:30], v[29:30], s[4:5], -v[31:32]
	v_fma_f64 v[31:32], v[33:34], s[4:5], -v[41:42]
	;; [unrolled: 1-line block ×3, first 2 shown]
	v_fma_f64 v[35:36], v[0:1], s[24:25], v[12:13]
	v_fma_f64 v[12:13], v[47:48], s[0:1], -v[12:13]
	v_fma_f64 v[0:1], v[0:1], s[18:19], -v[45:46]
	v_fma_f64 v[16:17], v[16:17], s[16:17], v[49:50]
	v_fma_f64 v[18:19], v[4:5], s[20:21], v[18:19]
	;; [unrolled: 1-line block ×4, first 2 shown]
	v_add_f64 v[6:7], v[6:7], v[14:15]
	v_add_f64 v[20:21], v[20:21], v[14:15]
	;; [unrolled: 1-line block ×3, first 2 shown]
	v_fma_f64 v[26:27], v[2:3], s[20:21], v[35:36]
	v_fma_f64 v[12:13], v[2:3], s[20:21], v[12:13]
	v_fma_f64 v[0:1], v[2:3], s[20:21], v[0:1]
	v_add_f64 v[2:3], v[8:9], v[16:17]
	v_add_f64 v[8:9], v[33:34], v[16:17]
	v_add_f64 v[16:17], v[31:32], v[16:17]
	v_mov_b32_e32 v35, 3
	v_add_f64 v[29:30], v[18:19], v[6:7]
	v_add_f64 v[31:32], v[4:5], v[20:21]
	v_add_f64 v[33:34], v[14:15], -v[24:25]
	v_add_f64 v[14:15], v[24:25], v[14:15]
	v_add_f64 v[4:5], v[20:21], -v[4:5]
	v_add_f64 v[6:7], v[6:7], -v[18:19]
	v_mul_u32_u24_sdwa v18, v55, v37 dst_sel:DWORD dst_unused:UNUSED_PAD src0_sel:WORD_0 src1_sel:DWORD
	v_lshlrev_b32_sdwa v19, v35, v73 dst_sel:DWORD dst_unused:UNUSED_PAD src0_sel:DWORD src1_sel:BYTE_0
	v_add_f64 v[20:21], v[8:9], -v[0:1]
	v_add_f64 v[24:25], v[12:13], v[16:17]
	v_add_f64 v[16:17], v[16:17], -v[12:13]
	v_add_f64 v[35:36], v[0:1], v[8:9]
	v_add3_u32 v37, 0, v18, v19
	v_add_f64 v[18:19], v[2:3], -v[26:27]
	v_add_f64 v[26:27], v[26:27], v[2:3]
	ds_write2_b64 v37, v[10:11], v[29:30] offset1:25
	ds_write2_b64 v37, v[31:32], v[33:34] offset0:50 offset1:75
	ds_write2_b64 v37, v[14:15], v[4:5] offset0:100 offset1:125
	ds_write_b64 v37, v[6:7] offset:1200
	s_waitcnt lgkmcnt(0)
	s_barrier
	buffer_gl0_inv
	ds_read_b64 v[10:11], v62 offset:8400
	ds_read_b64 v[8:9], v62
	ds_read_b64 v[12:13], v22 offset:1400
	ds_read2_b64 v[0:3], v23 offset0:30 offset1:205
	ds_read2_b64 v[4:7], v28 offset0:60 offset1:235
	s_waitcnt lgkmcnt(0)
	s_barrier
	buffer_gl0_inv
	ds_write2_b64 v37, v[49:50], v[18:19] offset1:25
	ds_write2_b64 v37, v[20:21], v[24:25] offset0:50 offset1:75
	ds_write2_b64 v37, v[16:17], v[35:36] offset0:100 offset1:125
	ds_write_b64 v37, v[26:27] offset:1200
	s_waitcnt lgkmcnt(0)
	s_barrier
	buffer_gl0_inv
	s_and_saveexec_b32 s26, vcc_lo
	s_cbranch_execz .LBB0_29
; %bb.28:
	v_mul_u32_u24_e32 v14, 6, v61
	v_add_nc_u32_e32 v39, 0xa00, v62
	v_add_nc_u32_e32 v43, 0x1400, v62
	v_lshlrev_b32_e32 v14, 4, v14
	v_add_co_u32 v14, s12, s12, v14
	v_add_co_ci_u32_e64 v15, null, s13, 0, s12
	v_add_co_u32 v35, vcc_lo, 0xaa0, v14
	v_add_co_ci_u32_e32 v36, vcc_lo, 0, v15, vcc_lo
	v_add_co_u32 v23, vcc_lo, 0x800, v14
	v_add_co_ci_u32_e32 v24, vcc_lo, 0, v15, vcc_lo
	;; [unrolled: 2-line block ×3, first 2 shown]
	s_clause 0x5
	global_load_dwordx4 v[14:17], v[35:36], off offset:16
	global_load_dwordx4 v[18:21], v[23:24], off offset:736
	;; [unrolled: 1-line block ×6, first 2 shown]
	ds_read2_b64 v[39:42], v39 offset0:30 offset1:205
	ds_read2_b64 v[43:46], v43 offset0:60 offset1:235
	ds_read_b64 v[47:48], v22 offset:1400
	ds_read_b64 v[49:50], v62 offset:8400
	ds_read_b64 v[51:52], v62
	s_waitcnt vmcnt(5) lgkmcnt(4)
	v_mul_f64 v[53:54], v[39:40], v[16:17]
	s_waitcnt vmcnt(4) lgkmcnt(3)
	v_mul_f64 v[61:62], v[45:46], v[20:21]
	v_mul_f64 v[16:17], v[0:1], v[16:17]
	;; [unrolled: 1-line block ×3, first 2 shown]
	s_waitcnt vmcnt(3)
	v_mul_f64 v[63:64], v[12:13], v[25:26]
	s_waitcnt vmcnt(2)
	v_mul_f64 v[65:66], v[10:11], v[29:30]
	s_waitcnt lgkmcnt(2)
	v_mul_f64 v[25:26], v[47:48], v[25:26]
	s_waitcnt lgkmcnt(1)
	v_mul_f64 v[29:30], v[49:50], v[29:30]
	s_waitcnt vmcnt(1)
	v_mul_f64 v[67:68], v[43:44], v[33:34]
	s_waitcnt vmcnt(0)
	v_mul_f64 v[69:70], v[41:42], v[37:38]
	v_mul_f64 v[37:38], v[2:3], v[37:38]
	;; [unrolled: 1-line block ×3, first 2 shown]
	v_fma_f64 v[0:1], v[0:1], v[14:15], -v[53:54]
	v_fma_f64 v[6:7], v[6:7], v[18:19], -v[61:62]
	v_fma_f64 v[14:15], v[14:15], v[39:40], v[16:17]
	v_fma_f64 v[16:17], v[18:19], v[45:46], v[20:21]
	;; [unrolled: 1-line block ×4, first 2 shown]
	v_fma_f64 v[12:13], v[12:13], v[23:24], -v[25:26]
	v_fma_f64 v[10:11], v[10:11], v[27:28], -v[29:30]
	;; [unrolled: 1-line block ×4, first 2 shown]
	v_fma_f64 v[22:23], v[35:36], v[41:42], v[37:38]
	v_fma_f64 v[24:25], v[31:32], v[43:44], v[33:34]
	v_mul_lo_u32 v50, s3, v58
	v_mul_lo_u32 v53, s2, v59
	v_mov_b32_e32 v61, 0
	v_add_f64 v[30:31], v[0:1], v[6:7]
	v_add_f64 v[0:1], v[0:1], -v[6:7]
	v_add_f64 v[26:27], v[14:15], v[16:17]
	v_add_f64 v[14:15], v[14:15], -v[16:17]
	;; [unrolled: 2-line block ×4, first 2 shown]
	v_add_f64 v[34:35], v[4:5], -v[2:3]
	v_add_f64 v[2:3], v[4:5], v[2:3]
	v_add_f64 v[6:7], v[24:25], v[22:23]
	v_add_f64 v[4:5], v[24:25], -v[22:23]
	v_add_f64 v[12:13], v[26:27], v[28:29]
	v_add_f64 v[40:41], v[14:15], -v[18:19]
	;; [unrolled: 2-line block ×3, first 2 shown]
	v_add_f64 v[20:21], v[34:35], -v[0:1]
	v_add_f64 v[24:25], v[32:33], -v[2:3]
	;; [unrolled: 1-line block ×5, first 2 shown]
	v_add_f64 v[44:45], v[34:35], v[0:1]
	v_add_f64 v[34:35], v[10:11], -v[34:35]
	v_add_f64 v[14:15], v[4:5], v[14:15]
	v_add_f64 v[4:5], v[18:19], -v[4:5]
	v_add_f64 v[30:31], v[30:31], -v[32:33]
	v_add_f64 v[12:13], v[6:7], v[12:13]
	v_add_f64 v[6:7], v[6:7], -v[26:27]
	v_add_f64 v[16:17], v[2:3], v[16:17]
	v_mul_f64 v[46:47], v[38:39], s[0:1]
	v_mul_f64 v[20:21], v[20:21], s[22:23]
	;; [unrolled: 1-line block ×7, first 2 shown]
	v_add_f64 v[10:11], v[44:45], v[10:11]
	v_add_f64 v[14:15], v[14:15], v[18:19]
	s_waitcnt lgkmcnt(0)
	v_add_f64 v[2:3], v[51:52], v[12:13]
	v_add_f64 v[0:1], v[8:9], v[16:17]
	v_add_f64 v[8:9], v[26:27], -v[28:29]
	v_mul_f64 v[26:27], v[6:7], s[6:7]
	v_mad_u64_u32 v[28:29], null, s2, v58, 0
	v_fma_f64 v[18:19], v[34:35], s[24:25], v[20:21]
	v_fma_f64 v[6:7], v[6:7], s[6:7], v[22:23]
	v_fma_f64 v[20:21], v[38:39], s[0:1], -v[20:21]
	v_fma_f64 v[42:43], v[42:43], s[6:7], v[24:25]
	v_fma_f64 v[44:45], v[4:5], s[24:25], v[36:37]
	v_fma_f64 v[34:35], v[34:35], s[18:19], -v[46:47]
	v_add3_u32 v29, v29, v53, v50
	v_fma_f64 v[4:5], v[4:5], s[18:19], -v[48:49]
	v_fma_f64 v[24:25], v[30:31], s[8:9], -v[24:25]
	;; [unrolled: 1-line block ×3, first 2 shown]
	v_lshlrev_b64 v[32:33], 4, v[56:57]
	v_fma_f64 v[12:13], v[12:13], s[16:17], v[2:3]
	v_fma_f64 v[16:17], v[16:17], s[16:17], v[0:1]
	v_fma_f64 v[22:23], v[8:9], s[8:9], -v[22:23]
	v_fma_f64 v[8:9], v[8:9], s[4:5], -v[26:27]
	v_lshlrev_b64 v[26:27], 4, v[28:29]
	v_fma_f64 v[28:29], v[40:41], s[0:1], -v[36:37]
	v_lshlrev_b64 v[36:37], 4, v[60:61]
	v_add_co_u32 v46, vcc_lo, s10, v26
	v_add_co_ci_u32_e32 v47, vcc_lo, s11, v27, vcc_lo
	v_fma_f64 v[26:27], v[10:11], s[20:21], v[18:19]
	v_fma_f64 v[18:19], v[10:11], s[20:21], v[20:21]
	v_fma_f64 v[38:39], v[14:15], s[20:21], v[44:45]
	v_fma_f64 v[34:35], v[10:11], s[20:21], v[34:35]
	v_add_f64 v[20:21], v[6:7], v[12:13]
	v_add_co_u32 v6, vcc_lo, v46, v32
	v_add_f64 v[40:41], v[42:43], v[16:17]
	v_add_f64 v[22:23], v[22:23], v[12:13]
	;; [unrolled: 1-line block ×3, first 2 shown]
	v_add_co_ci_u32_e32 v7, vcc_lo, v47, v33, vcc_lo
	v_fma_f64 v[32:33], v[14:15], s[20:21], v[4:5]
	v_fma_f64 v[12:13], v[14:15], s[20:21], v[28:29]
	v_add_f64 v[28:29], v[24:25], v[16:17]
	v_add_f64 v[30:31], v[30:31], v[16:17]
	v_add_co_u32 v36, vcc_lo, v6, v36
	v_add_co_ci_u32_e32 v37, vcc_lo, v7, v37, vcc_lo
	v_add_co_u32 v42, vcc_lo, 0x800, v36
	v_add_co_ci_u32_e32 v43, vcc_lo, 0, v37, vcc_lo
	v_add_co_u32 v44, vcc_lo, 0x1000, v36
	v_add_f64 v[6:7], v[26:27], v[20:21]
	v_add_f64 v[26:27], v[20:21], -v[26:27]
	v_add_f64 v[24:25], v[38:39], v[40:41]
	v_add_f64 v[10:11], v[34:35], v[22:23]
	v_add_f64 v[22:23], v[22:23], -v[34:35]
	v_add_f64 v[14:15], v[8:9], -v[18:19]
	v_add_f64 v[18:19], v[18:19], v[8:9]
	v_add_f64 v[4:5], v[40:41], -v[38:39]
	v_add_co_ci_u32_e32 v45, vcc_lo, 0, v37, vcc_lo
	v_add_f64 v[20:21], v[32:33], v[28:29]
	v_add_f64 v[16:17], v[30:31], -v[12:13]
	v_add_f64 v[12:13], v[12:13], v[30:31]
	v_add_f64 v[8:9], v[28:29], -v[32:33]
	v_add_co_u32 v28, vcc_lo, 0x2000, v36
	v_add_co_ci_u32_e32 v29, vcc_lo, 0, v37, vcc_lo
	v_add_co_u32 v30, vcc_lo, 0x2800, v36
	v_add_co_ci_u32_e32 v31, vcc_lo, 0, v37, vcc_lo
	v_add_co_u32 v32, vcc_lo, 0x3000, v36
	v_add_co_ci_u32_e32 v33, vcc_lo, 0, v37, vcc_lo
	v_add_co_u32 v34, vcc_lo, 0x4000, v36
	v_add_co_ci_u32_e32 v35, vcc_lo, 0, v37, vcc_lo
	global_store_dwordx4 v[36:37], v[0:3], off
	global_store_dwordx4 v[42:43], v[24:27], off offset:752
	global_store_dwordx4 v[44:45], v[20:23], off offset:1504
	;; [unrolled: 1-line block ×6, first 2 shown]
.LBB0_29:
	s_endpgm
	.section	.rodata,"a",@progbits
	.p2align	6, 0x0
	.amdhsa_kernel fft_rtc_fwd_len1225_factors_5_5_7_7_wgs_175_tpt_175_halfLds_dp_op_CI_CI_unitstride_sbrr_dirReg
		.amdhsa_group_segment_fixed_size 0
		.amdhsa_private_segment_fixed_size 0
		.amdhsa_kernarg_size 104
		.amdhsa_user_sgpr_count 6
		.amdhsa_user_sgpr_private_segment_buffer 1
		.amdhsa_user_sgpr_dispatch_ptr 0
		.amdhsa_user_sgpr_queue_ptr 0
		.amdhsa_user_sgpr_kernarg_segment_ptr 1
		.amdhsa_user_sgpr_dispatch_id 0
		.amdhsa_user_sgpr_flat_scratch_init 0
		.amdhsa_user_sgpr_private_segment_size 0
		.amdhsa_wavefront_size32 1
		.amdhsa_uses_dynamic_stack 0
		.amdhsa_system_sgpr_private_segment_wavefront_offset 0
		.amdhsa_system_sgpr_workgroup_id_x 1
		.amdhsa_system_sgpr_workgroup_id_y 0
		.amdhsa_system_sgpr_workgroup_id_z 0
		.amdhsa_system_sgpr_workgroup_info 0
		.amdhsa_system_vgpr_workitem_id 0
		.amdhsa_next_free_vgpr 96
		.amdhsa_next_free_sgpr 27
		.amdhsa_reserve_vcc 1
		.amdhsa_reserve_flat_scratch 0
		.amdhsa_float_round_mode_32 0
		.amdhsa_float_round_mode_16_64 0
		.amdhsa_float_denorm_mode_32 3
		.amdhsa_float_denorm_mode_16_64 3
		.amdhsa_dx10_clamp 1
		.amdhsa_ieee_mode 1
		.amdhsa_fp16_overflow 0
		.amdhsa_workgroup_processor_mode 1
		.amdhsa_memory_ordered 1
		.amdhsa_forward_progress 0
		.amdhsa_shared_vgpr_count 0
		.amdhsa_exception_fp_ieee_invalid_op 0
		.amdhsa_exception_fp_denorm_src 0
		.amdhsa_exception_fp_ieee_div_zero 0
		.amdhsa_exception_fp_ieee_overflow 0
		.amdhsa_exception_fp_ieee_underflow 0
		.amdhsa_exception_fp_ieee_inexact 0
		.amdhsa_exception_int_div_zero 0
	.end_amdhsa_kernel
	.text
.Lfunc_end0:
	.size	fft_rtc_fwd_len1225_factors_5_5_7_7_wgs_175_tpt_175_halfLds_dp_op_CI_CI_unitstride_sbrr_dirReg, .Lfunc_end0-fft_rtc_fwd_len1225_factors_5_5_7_7_wgs_175_tpt_175_halfLds_dp_op_CI_CI_unitstride_sbrr_dirReg
                                        ; -- End function
	.section	.AMDGPU.csdata,"",@progbits
; Kernel info:
; codeLenInByte = 7512
; NumSgprs: 29
; NumVgprs: 96
; ScratchSize: 0
; MemoryBound: 1
; FloatMode: 240
; IeeeMode: 1
; LDSByteSize: 0 bytes/workgroup (compile time only)
; SGPRBlocks: 3
; VGPRBlocks: 11
; NumSGPRsForWavesPerEU: 29
; NumVGPRsForWavesPerEU: 96
; Occupancy: 10
; WaveLimiterHint : 1
; COMPUTE_PGM_RSRC2:SCRATCH_EN: 0
; COMPUTE_PGM_RSRC2:USER_SGPR: 6
; COMPUTE_PGM_RSRC2:TRAP_HANDLER: 0
; COMPUTE_PGM_RSRC2:TGID_X_EN: 1
; COMPUTE_PGM_RSRC2:TGID_Y_EN: 0
; COMPUTE_PGM_RSRC2:TGID_Z_EN: 0
; COMPUTE_PGM_RSRC2:TIDIG_COMP_CNT: 0
	.text
	.p2alignl 6, 3214868480
	.fill 48, 4, 3214868480
	.type	__hip_cuid_5a05a89747fd2311,@object ; @__hip_cuid_5a05a89747fd2311
	.section	.bss,"aw",@nobits
	.globl	__hip_cuid_5a05a89747fd2311
__hip_cuid_5a05a89747fd2311:
	.byte	0                               ; 0x0
	.size	__hip_cuid_5a05a89747fd2311, 1

	.ident	"AMD clang version 19.0.0git (https://github.com/RadeonOpenCompute/llvm-project roc-6.4.0 25133 c7fe45cf4b819c5991fe208aaa96edf142730f1d)"
	.section	".note.GNU-stack","",@progbits
	.addrsig
	.addrsig_sym __hip_cuid_5a05a89747fd2311
	.amdgpu_metadata
---
amdhsa.kernels:
  - .args:
      - .actual_access:  read_only
        .address_space:  global
        .offset:         0
        .size:           8
        .value_kind:     global_buffer
      - .offset:         8
        .size:           8
        .value_kind:     by_value
      - .actual_access:  read_only
        .address_space:  global
        .offset:         16
        .size:           8
        .value_kind:     global_buffer
      - .actual_access:  read_only
        .address_space:  global
        .offset:         24
        .size:           8
        .value_kind:     global_buffer
      - .actual_access:  read_only
        .address_space:  global
        .offset:         32
        .size:           8
        .value_kind:     global_buffer
      - .offset:         40
        .size:           8
        .value_kind:     by_value
      - .actual_access:  read_only
        .address_space:  global
        .offset:         48
        .size:           8
        .value_kind:     global_buffer
      - .actual_access:  read_only
        .address_space:  global
        .offset:         56
        .size:           8
        .value_kind:     global_buffer
      - .offset:         64
        .size:           4
        .value_kind:     by_value
      - .actual_access:  read_only
        .address_space:  global
        .offset:         72
        .size:           8
        .value_kind:     global_buffer
      - .actual_access:  read_only
        .address_space:  global
        .offset:         80
        .size:           8
        .value_kind:     global_buffer
      - .actual_access:  read_only
        .address_space:  global
        .offset:         88
        .size:           8
        .value_kind:     global_buffer
      - .actual_access:  write_only
        .address_space:  global
        .offset:         96
        .size:           8
        .value_kind:     global_buffer
    .group_segment_fixed_size: 0
    .kernarg_segment_align: 8
    .kernarg_segment_size: 104
    .language:       OpenCL C
    .language_version:
      - 2
      - 0
    .max_flat_workgroup_size: 175
    .name:           fft_rtc_fwd_len1225_factors_5_5_7_7_wgs_175_tpt_175_halfLds_dp_op_CI_CI_unitstride_sbrr_dirReg
    .private_segment_fixed_size: 0
    .sgpr_count:     29
    .sgpr_spill_count: 0
    .symbol:         fft_rtc_fwd_len1225_factors_5_5_7_7_wgs_175_tpt_175_halfLds_dp_op_CI_CI_unitstride_sbrr_dirReg.kd
    .uniform_work_group_size: 1
    .uses_dynamic_stack: false
    .vgpr_count:     96
    .vgpr_spill_count: 0
    .wavefront_size: 32
    .workgroup_processor_mode: 1
amdhsa.target:   amdgcn-amd-amdhsa--gfx1030
amdhsa.version:
  - 1
  - 2
...

	.end_amdgpu_metadata
